;; amdgpu-corpus repo=zjin-lcf/HeCBench kind=compiled arch=gfx1250 opt=O3
	.amdgcn_target "amdgcn-amd-amdhsa--gfx1250"
	.amdhsa_code_object_version 6
	.text
	.protected	_Z6tissuePKiPKfS2_PfS2_S2_iiii ; -- Begin function _Z6tissuePKiPKfS2_PfS2_S2_iiii
	.globl	_Z6tissuePKiPKfS2_PfS2_S2_iiii
	.p2align	8
	.type	_Z6tissuePKiPKfS2_PfS2_S2_iiii,@function
_Z6tissuePKiPKfS2_PfS2_S2_iiii:         ; @_Z6tissuePKiPKfS2_PfS2_S2_iiii
; %bb.0:
	s_clause 0x1
	s_load_b32 s2, s[0:1], 0x4c
	s_load_b128 s[4:7], s[0:1], 0x30
	s_bfe_u32 s3, ttmp6, 0x4000c
	s_and_b32 s8, ttmp6, 15
	s_add_co_i32 s3, s3, 1
	s_getreg_b32 s9, hwreg(HW_REG_IB_STS2, 6, 4)
	s_mul_i32 s3, ttmp9, s3
	s_delay_alu instid0(SALU_CYCLE_1) | instskip(SKIP_4) | instid1(SALU_CYCLE_1)
	s_add_co_i32 s8, s8, s3
	s_wait_kmcnt 0x0
	s_and_b32 s2, s2, 0xffff
	s_cmp_eq_u32 s9, 0
	s_cselect_b32 s3, ttmp9, s8
	v_mad_u32 v6, s3, s2, v0
	s_mul_i32 s2, s6, s4
	s_delay_alu instid0(VALU_DEP_1) | instid1(SALU_CYCLE_1)
	v_cmp_gt_i32_e32 vcc_lo, s2, v6
	s_and_saveexec_b32 s2, vcc_lo
	s_cbranch_execz .LBB0_14
; %bb.1:
	s_abs_i32 s2, s6
	s_load_b64 s[16:17], s[0:1], 0x18
	s_cvt_f32_u32 s3, s2
	s_sub_co_i32 s8, 0, s2
	s_mov_b32 s22, exec_lo
	s_delay_alu instid0(SALU_CYCLE_1) | instskip(SKIP_1) | instid1(TRANS32_DEP_1)
	v_rcp_iflag_f32_e32 v0, s3
	v_nop
	v_readfirstlane_b32 s3, v0
	v_sub_nc_u32_e32 v0, 0, v6
	s_mul_f32 s3, s3, 0x4f7ffffe
	s_delay_alu instid0(VALU_DEP_1) | instskip(NEXT) | instid1(SALU_CYCLE_2)
	v_max_i32_e32 v0, v6, v0
	s_cvt_u32_f32 s3, s3
	s_delay_alu instid0(SALU_CYCLE_3) | instskip(NEXT) | instid1(SALU_CYCLE_1)
	s_mul_i32 s8, s8, s3
	s_mul_hi_u32 s8, s3, s8
	s_delay_alu instid0(SALU_CYCLE_1) | instskip(NEXT) | instid1(SALU_CYCLE_1)
	s_add_co_i32 s3, s3, s8
	v_mul_hi_u32 v1, v0, s3
	s_delay_alu instid0(VALU_DEP_1) | instskip(NEXT) | instid1(VALU_DEP_1)
	v_mul_lo_u32 v2, v1, s2
	v_dual_sub_nc_u32 v0, v0, v2 :: v_dual_add_nc_u32 v2, 1, v1
	s_delay_alu instid0(VALU_DEP_1) | instskip(SKIP_1) | instid1(VALU_DEP_3)
	v_subrev_nc_u32_e32 v3, s2, v0
	v_cmp_le_u32_e32 vcc_lo, s2, v0
	v_cndmask_b32_e32 v1, v1, v2, vcc_lo
	s_delay_alu instid0(VALU_DEP_3) | instskip(NEXT) | instid1(VALU_DEP_2)
	v_dual_cndmask_b32 v0, v0, v3, vcc_lo :: v_dual_bitop2_b32 v2, s6, v6 bitop3:0x14
	v_add_nc_u32_e32 v3, 1, v1
	s_delay_alu instid0(VALU_DEP_2) | instskip(NEXT) | instid1(VALU_DEP_2)
	v_cmp_le_u32_e32 vcc_lo, s2, v0
	v_dual_ashrrev_i32 v4, 31, v2 :: v_dual_cndmask_b32 v0, v1, v3, vcc_lo
	s_delay_alu instid0(VALU_DEP_1) | instskip(NEXT) | instid1(VALU_DEP_1)
	v_dual_mov_b32 v3, 0 :: v_dual_bitop2_b32 v5, v0, v4 bitop3:0x14
	v_sub_nc_u32_e32 v0, v5, v4
	s_delay_alu instid0(VALU_DEP_1)
	v_mul_lo_u32 v7, v0, s6
	v_ashrrev_i32_e32 v1, 31, v0
	v_cmp_le_i32_e32 vcc_lo, s4, v0
	v_cmpx_gt_i32_e64 s4, v0
	s_cbranch_execz .LBB0_9
; %bb.2:
	s_delay_alu instid0(VALU_DEP_4) | instskip(SKIP_1) | instid1(VALU_DEP_1)
	v_dual_mov_b32 v3, 0 :: v_dual_sub_nc_u32 v2, v6, v7
	s_mov_b32 s23, exec_lo
	v_cmpx_gt_i32_e64 s4, v2
	s_cbranch_execz .LBB0_6
; %bb.3:
	s_clause 0x1
	s_load_b128 s[8:11], s[0:1], 0x0
	s_load_b64 s[2:3], s[0:1], 0x10
	s_ashr_i32 s13, s4, 31
	s_mov_b32 s12, s4
	s_add_co_i32 s20, s4, s4
	s_lshl_b64 s[18:19], s[12:13], 2
	v_dual_add_nc_u32 v3, s20, v0 :: v_dual_sub_nc_u32 v4, v4, v5
	s_load_b128 s[12:15], s[0:1], 0x20
	s_wait_xcnt 0x0
	s_add_co_i32 s1, s7, -1
	s_ashr_i32 s7, s6, 31
	s_mul_i32 s1, s1, s5
	v_mul_lo_u32 v11, s6, v4
	s_mov_b32 s5, 0
	s_wait_kmcnt 0x0
	v_lshl_add_u64 v[12:13], v[0:1], 2, s[8:9]
	s_delay_alu instid0(VALU_DEP_1)
	v_add_nc_u64_e32 v[14:15], s[18:19], v[12:13]
	s_add_nc_u64 s[18:19], s[8:9], s[18:19]
	s_clause 0x2
	global_load_b32 v8, v[12:13], off
	global_load_b32 v9, v[14:15], off
	global_load_b32 v10, v3, s[8:9] scale_offset
	s_wait_xcnt 0x0
	v_dual_ashrrev_i32 v3, 31, v2 :: v_dual_sub_nc_u32 v12, s20, v7
	s_lshl_b64 s[20:21], s[6:7], 2
	v_mov_b32_e32 v13, v6
	s_delay_alu instid0(VALU_DEP_2)
	v_lshlrev_b64_e32 v[4:5], 2, v[2:3]
	v_mov_b32_e32 v3, 0
.LBB0_4:                                ; =>This Inner Loop Header: Depth=1
	s_delay_alu instid0(VALU_DEP_2)
	v_add_nc_u64_e32 v[14:15], s[8:9], v[4:5]
	v_add_nc_u64_e32 v[16:17], s[18:19], v[4:5]
	v_add_nc_u32_e32 v18, v12, v13
	s_clause 0x2
	global_load_b32 v19, v[14:15], off
	global_load_b32 v20, v[16:17], off
	global_load_b32 v21, v18, s[8:9] scale_offset
	s_wait_loadcnt 0x2
	s_wait_xcnt 0x2
	v_dual_add_nc_u32 v13, s6, v13 :: v_dual_sub_nc_u32 v14, v19, v8
	s_wait_loadcnt 0x0
	v_dual_sub_nc_u32 v16, v20, v9 :: v_dual_sub_nc_u32 v17, v21, v10
	s_delay_alu instid0(VALU_DEP_1) | instskip(NEXT) | instid1(VALU_DEP_1)
	v_dual_sub_nc_u32 v15, 0, v14 :: v_dual_sub_nc_u32 v18, 0, v16
	v_dual_sub_nc_u32 v19, 0, v17 :: v_dual_max_i32 v20, v14, v15
	s_delay_alu instid0(VALU_DEP_2) | instskip(NEXT) | instid1(VALU_DEP_2)
	v_max_i32_e32 v18, v16, v18
	v_max_i32_e32 v19, v17, v19
	v_add_nc_u64_e32 v[14:15], s[12:13], v[4:5]
	v_add_nc_u64_e32 v[16:17], s[14:15], v[4:5]
	v_add_nc_u32_e32 v20, s1, v20
	v_add_nc_u64_e32 v[4:5], s[20:21], v[4:5]
	s_delay_alu instid0(VALU_DEP_2)
	v_add3_u32 v22, v20, v18, v19
	global_load_b32 v18, v[14:15], off
	global_load_b32 v19, v[16:17], off
	s_clause 0x1
	global_load_b32 v20, v22, s[10:11] scale_offset
	global_load_b32 v21, v22, s[2:3] scale_offset
	s_wait_loadcnt 0x0
	v_pk_mul_f32 v[14:15], v[20:21], v[18:19]
	s_delay_alu instid0(VALU_DEP_1) | instskip(NEXT) | instid1(VALU_DEP_1)
	v_dual_add_nc_u32 v16, v11, v13 :: v_dual_add_f32 v14, v14, v15
	v_cmp_le_i32_e64 s0, s4, v16
	s_delay_alu instid0(VALU_DEP_2) | instskip(SKIP_1) | instid1(SALU_CYCLE_1)
	v_add_f32_e32 v3, v3, v14
	s_or_b32 s5, s0, s5
	s_and_not1_b32 exec_lo, exec_lo, s5
	s_cbranch_execnz .LBB0_4
; %bb.5:
	s_or_b32 exec_lo, exec_lo, s5
.LBB0_6:
	s_delay_alu instid0(SALU_CYCLE_1)
	s_or_b32 exec_lo, exec_lo, s23
	s_wait_xcnt 0x0
	s_mov_b32 s1, exec_lo
	v_cmpx_eq_u32_e32 0, v2
	s_cbranch_execz .LBB0_8
; %bb.7:
	s_wait_kmcnt 0x0
	v_lshl_add_u64 v[4:5], v[0:1], 2, s[16:17]
	global_store_b32 v[4:5], v3, off
.LBB0_8:
	s_wait_xcnt 0x0
	s_or_b32 exec_lo, exec_lo, s1
.LBB0_9:
	s_delay_alu instid0(SALU_CYCLE_1)
	s_or_b32 exec_lo, exec_lo, s22
	s_cmp_lt_i32 s6, 2
	s_cbranch_scc1 .LBB0_14
; %bb.10:
	s_wait_kmcnt 0x0
	v_lshl_add_u64 v[0:1], v[0:1], 2, s[16:17]
	v_xad_u32 v2, v7, -1, v6
	s_add_co_i32 s0, s6, -1
	s_branch .LBB0_12
.LBB0_11:                               ;   in Loop: Header=BB0_12 Depth=1
	s_wait_xcnt 0x0
	s_or_b32 exec_lo, exec_lo, s1
	s_add_co_i32 s0, s0, -1
	s_delay_alu instid0(SALU_CYCLE_1)
	s_cmp_lg_u32 s0, 0
	s_cbranch_scc0 .LBB0_14
.LBB0_12:                               ; =>This Inner Loop Header: Depth=1
	s_delay_alu instid0(VALU_DEP_1) | instskip(SKIP_1) | instid1(SALU_CYCLE_1)
	v_add_co_u32 v2, s1, v2, -1
	s_nor_b32 s2, vcc_lo, s1
	s_and_saveexec_b32 s1, s2
	s_cbranch_execz .LBB0_11
; %bb.13:                               ;   in Loop: Header=BB0_12 Depth=1
	global_load_b32 v4, v[0:1], off
	s_wait_loadcnt 0x0
	v_add_f32_e32 v4, v3, v4
	global_store_b32 v[0:1], v4, off
	s_branch .LBB0_11
.LBB0_14:
	s_endpgm
	.section	.rodata,"a",@progbits
	.p2align	6, 0x0
	.amdhsa_kernel _Z6tissuePKiPKfS2_PfS2_S2_iiii
		.amdhsa_group_segment_fixed_size 0
		.amdhsa_private_segment_fixed_size 0
		.amdhsa_kernarg_size 320
		.amdhsa_user_sgpr_count 2
		.amdhsa_user_sgpr_dispatch_ptr 0
		.amdhsa_user_sgpr_queue_ptr 0
		.amdhsa_user_sgpr_kernarg_segment_ptr 1
		.amdhsa_user_sgpr_dispatch_id 0
		.amdhsa_user_sgpr_kernarg_preload_length 0
		.amdhsa_user_sgpr_kernarg_preload_offset 0
		.amdhsa_user_sgpr_private_segment_size 0
		.amdhsa_wavefront_size32 1
		.amdhsa_uses_dynamic_stack 0
		.amdhsa_enable_private_segment 0
		.amdhsa_system_sgpr_workgroup_id_x 1
		.amdhsa_system_sgpr_workgroup_id_y 0
		.amdhsa_system_sgpr_workgroup_id_z 0
		.amdhsa_system_sgpr_workgroup_info 0
		.amdhsa_system_vgpr_workitem_id 0
		.amdhsa_next_free_vgpr 23
		.amdhsa_next_free_sgpr 24
		.amdhsa_named_barrier_count 0
		.amdhsa_reserve_vcc 1
		.amdhsa_float_round_mode_32 0
		.amdhsa_float_round_mode_16_64 0
		.amdhsa_float_denorm_mode_32 3
		.amdhsa_float_denorm_mode_16_64 3
		.amdhsa_fp16_overflow 0
		.amdhsa_memory_ordered 1
		.amdhsa_forward_progress 1
		.amdhsa_inst_pref_size 8
		.amdhsa_round_robin_scheduling 0
		.amdhsa_exception_fp_ieee_invalid_op 0
		.amdhsa_exception_fp_denorm_src 0
		.amdhsa_exception_fp_ieee_div_zero 0
		.amdhsa_exception_fp_ieee_overflow 0
		.amdhsa_exception_fp_ieee_underflow 0
		.amdhsa_exception_fp_ieee_inexact 0
		.amdhsa_exception_int_div_zero 0
	.end_amdhsa_kernel
	.text
.Lfunc_end0:
	.size	_Z6tissuePKiPKfS2_PfS2_S2_iiii, .Lfunc_end0-_Z6tissuePKiPKfS2_PfS2_S2_iiii
                                        ; -- End function
	.set _Z6tissuePKiPKfS2_PfS2_S2_iiii.num_vgpr, 23
	.set _Z6tissuePKiPKfS2_PfS2_S2_iiii.num_agpr, 0
	.set _Z6tissuePKiPKfS2_PfS2_S2_iiii.numbered_sgpr, 24
	.set _Z6tissuePKiPKfS2_PfS2_S2_iiii.num_named_barrier, 0
	.set _Z6tissuePKiPKfS2_PfS2_S2_iiii.private_seg_size, 0
	.set _Z6tissuePKiPKfS2_PfS2_S2_iiii.uses_vcc, 1
	.set _Z6tissuePKiPKfS2_PfS2_S2_iiii.uses_flat_scratch, 0
	.set _Z6tissuePKiPKfS2_PfS2_S2_iiii.has_dyn_sized_stack, 0
	.set _Z6tissuePKiPKfS2_PfS2_S2_iiii.has_recursion, 0
	.set _Z6tissuePKiPKfS2_PfS2_S2_iiii.has_indirect_call, 0
	.section	.AMDGPU.csdata,"",@progbits
; Kernel info:
; codeLenInByte = 996
; TotalNumSgprs: 26
; NumVgprs: 23
; ScratchSize: 0
; MemoryBound: 0
; FloatMode: 240
; IeeeMode: 1
; LDSByteSize: 0 bytes/workgroup (compile time only)
; SGPRBlocks: 0
; VGPRBlocks: 1
; NumSGPRsForWavesPerEU: 26
; NumVGPRsForWavesPerEU: 23
; NamedBarCnt: 0
; Occupancy: 16
; WaveLimiterHint : 0
; COMPUTE_PGM_RSRC2:SCRATCH_EN: 0
; COMPUTE_PGM_RSRC2:USER_SGPR: 2
; COMPUTE_PGM_RSRC2:TRAP_HANDLER: 0
; COMPUTE_PGM_RSRC2:TGID_X_EN: 1
; COMPUTE_PGM_RSRC2:TGID_Y_EN: 0
; COMPUTE_PGM_RSRC2:TGID_Z_EN: 0
; COMPUTE_PGM_RSRC2:TIDIG_COMP_CNT: 0
	.text
	.p2alignl 7, 3214868480
	.fill 96, 4, 3214868480
	.section	.AMDGPU.gpr_maximums,"",@progbits
	.set amdgpu.max_num_vgpr, 0
	.set amdgpu.max_num_agpr, 0
	.set amdgpu.max_num_sgpr, 0
	.text
	.type	__hip_cuid_aec73a72516610c2,@object ; @__hip_cuid_aec73a72516610c2
	.section	.bss,"aw",@nobits
	.globl	__hip_cuid_aec73a72516610c2
__hip_cuid_aec73a72516610c2:
	.byte	0                               ; 0x0
	.size	__hip_cuid_aec73a72516610c2, 1

	.ident	"AMD clang version 22.0.0git (https://github.com/RadeonOpenCompute/llvm-project roc-7.2.4 26084 f58b06dce1f9c15707c5f808fd002e18c2accf7e)"
	.section	".note.GNU-stack","",@progbits
	.addrsig
	.addrsig_sym __hip_cuid_aec73a72516610c2
	.amdgpu_metadata
---
amdhsa.kernels:
  - .args:
      - .actual_access:  read_only
        .address_space:  global
        .offset:         0
        .size:           8
        .value_kind:     global_buffer
      - .actual_access:  read_only
        .address_space:  global
        .offset:         8
        .size:           8
        .value_kind:     global_buffer
      - .actual_access:  read_only
        .address_space:  global
        .offset:         16
        .size:           8
        .value_kind:     global_buffer
      - .address_space:  global
        .offset:         24
        .size:           8
        .value_kind:     global_buffer
      - .actual_access:  read_only
        .address_space:  global
        .offset:         32
        .size:           8
        .value_kind:     global_buffer
      - .actual_access:  read_only
        .address_space:  global
        .offset:         40
        .size:           8
        .value_kind:     global_buffer
      - .offset:         48
        .size:           4
        .value_kind:     by_value
      - .offset:         52
        .size:           4
        .value_kind:     by_value
      - .offset:         56
        .size:           4
        .value_kind:     by_value
      - .offset:         60
        .size:           4
        .value_kind:     by_value
      - .offset:         64
        .size:           4
        .value_kind:     hidden_block_count_x
      - .offset:         68
        .size:           4
        .value_kind:     hidden_block_count_y
      - .offset:         72
        .size:           4
        .value_kind:     hidden_block_count_z
      - .offset:         76
        .size:           2
        .value_kind:     hidden_group_size_x
      - .offset:         78
        .size:           2
        .value_kind:     hidden_group_size_y
      - .offset:         80
        .size:           2
        .value_kind:     hidden_group_size_z
      - .offset:         82
        .size:           2
        .value_kind:     hidden_remainder_x
      - .offset:         84
        .size:           2
        .value_kind:     hidden_remainder_y
      - .offset:         86
        .size:           2
        .value_kind:     hidden_remainder_z
      - .offset:         104
        .size:           8
        .value_kind:     hidden_global_offset_x
      - .offset:         112
        .size:           8
        .value_kind:     hidden_global_offset_y
      - .offset:         120
        .size:           8
        .value_kind:     hidden_global_offset_z
      - .offset:         128
        .size:           2
        .value_kind:     hidden_grid_dims
    .group_segment_fixed_size: 0
    .kernarg_segment_align: 8
    .kernarg_segment_size: 320
    .language:       OpenCL C
    .language_version:
      - 2
      - 0
    .max_flat_workgroup_size: 1024
    .name:           _Z6tissuePKiPKfS2_PfS2_S2_iiii
    .private_segment_fixed_size: 0
    .sgpr_count:     26
    .sgpr_spill_count: 0
    .symbol:         _Z6tissuePKiPKfS2_PfS2_S2_iiii.kd
    .uniform_work_group_size: 1
    .uses_dynamic_stack: false
    .vgpr_count:     23
    .vgpr_spill_count: 0
    .wavefront_size: 32
amdhsa.target:   amdgcn-amd-amdhsa--gfx1250
amdhsa.version:
  - 1
  - 2
...

	.end_amdgpu_metadata
